;; amdgpu-corpus repo=ROCm/rocFFT kind=compiled arch=gfx906 opt=O3
	.text
	.amdgcn_target "amdgcn-amd-amdhsa--gfx906"
	.amdhsa_code_object_version 6
	.protected	bluestein_single_back_len132_dim1_dp_op_CI_CI ; -- Begin function bluestein_single_back_len132_dim1_dp_op_CI_CI
	.globl	bluestein_single_back_len132_dim1_dp_op_CI_CI
	.p2align	8
	.type	bluestein_single_back_len132_dim1_dp_op_CI_CI,@function
bluestein_single_back_len132_dim1_dp_op_CI_CI: ; @bluestein_single_back_len132_dim1_dp_op_CI_CI
; %bb.0:
	v_mul_u32_u24_e32 v1, 0xba3, v0
	s_load_dwordx4 s[0:3], s[4:5], 0x28
	v_lshrrev_b32_e32 v1, 16, v1
	v_mad_u64_u32 v[80:81], s[6:7], s6, 5, v[1:2]
	v_mov_b32_e32 v81, 0
	s_waitcnt lgkmcnt(0)
	v_cmp_gt_u64_e32 vcc, s[0:1], v[80:81]
	s_and_saveexec_b64 s[0:1], vcc
	s_cbranch_execz .LBB0_15
; %bb.1:
	s_mov_b32 s0, 0xcccccccd
	v_mul_hi_u32 v2, v80, s0
	v_mul_lo_u16_e32 v1, 22, v1
	s_load_dwordx2 s[14:15], s[4:5], 0x0
	s_load_dwordx2 s[12:13], s[4:5], 0x38
	v_sub_u16_e32 v185, v0, v1
	v_lshrrev_b32_e32 v0, 2, v2
	v_lshl_add_u32 v0, v0, 2, v0
	v_sub_u32_e32 v0, v80, v0
	v_mul_u32_u24_e32 v188, 0x84, v0
	v_cmp_gt_u16_e32 vcc, 12, v185
	v_lshlrev_b32_e32 v187, 4, v185
	v_lshlrev_b32_e32 v189, 4, v188
	v_or_b32_e32 v186, 48, v185
	s_and_saveexec_b64 s[6:7], vcc
	s_cbranch_execz .LBB0_3
; %bb.2:
	s_load_dwordx2 s[0:1], s[4:5], 0x18
	v_or_b32_e32 v56, 0x60, v185
	v_mov_b32_e32 v66, 0x180
	s_waitcnt lgkmcnt(0)
	s_load_dwordx4 s[8:11], s[0:1], 0x0
	s_waitcnt lgkmcnt(0)
	v_mad_u64_u32 v[0:1], s[0:1], s10, v80, 0
	v_mad_u64_u32 v[2:3], s[0:1], s8, v185, 0
	s_mul_i32 s10, s9, 0x180
	v_mad_u64_u32 v[4:5], s[0:1], s11, v80, v[1:2]
	v_mad_u64_u32 v[5:6], s[0:1], s9, v185, v[3:4]
	v_mov_b32_e32 v1, v4
	v_lshlrev_b64 v[0:1], 4, v[0:1]
	v_mov_b32_e32 v3, v5
	v_mov_b32_e32 v6, s3
	v_lshlrev_b64 v[2:3], 4, v[2:3]
	v_add_co_u32_e64 v64, s[0:1], s2, v0
	v_addc_co_u32_e64 v65, s[0:1], v6, v1, s[0:1]
	v_add_co_u32_e64 v16, s[0:1], v64, v2
	v_addc_co_u32_e64 v17, s[0:1], v65, v3, s[0:1]
	s_mul_i32 s0, s9, 0xc0
	s_mul_hi_u32 s2, s8, 0xc0
	s_add_i32 s2, s2, s0
	s_mul_i32 s3, s8, 0xc0
	v_mov_b32_e32 v0, s2
	v_add_co_u32_e64 v18, s[0:1], s3, v16
	v_addc_co_u32_e64 v19, s[0:1], v17, v0, s[0:1]
	global_load_dwordx4 v[0:3], v[16:17], off
	global_load_dwordx4 v[4:7], v[18:19], off
	global_load_dwordx4 v[8:11], v187, s[14:15]
	global_load_dwordx4 v[12:15], v187, s[14:15] offset:192
	v_mov_b32_e32 v16, s2
	v_add_co_u32_e64 v32, s[0:1], s3, v18
	v_addc_co_u32_e64 v33, s[0:1], v19, v16, s[0:1]
	v_add_co_u32_e64 v48, s[0:1], s3, v32
	v_addc_co_u32_e64 v49, s[0:1], v33, v16, s[0:1]
	v_mad_u64_u32 v[50:51], s[0:1], s8, v186, 0
	v_mad_u64_u32 v[52:53], s[0:1], s8, v56, 0
	global_load_dwordx4 v[16:19], v187, s[14:15] offset:384
	global_load_dwordx4 v[20:23], v187, s[14:15] offset:576
	global_load_dwordx4 v[24:27], v[32:33], off
	global_load_dwordx4 v[28:31], v[48:49], off
	s_nop 0
	global_load_dwordx4 v[32:35], v187, s[14:15] offset:768
	global_load_dwordx4 v[36:39], v187, s[14:15] offset:960
	v_mad_u64_u32 v[54:55], s[0:1], s9, v186, v[51:52]
	global_load_dwordx4 v[40:43], v187, s[14:15] offset:1152
	global_load_dwordx4 v[44:47], v187, s[14:15] offset:1344
	v_mov_b32_e32 v58, s2
	v_mad_u64_u32 v[55:56], s[0:1], s9, v56, v[53:54]
	v_mov_b32_e32 v51, v54
	v_lshlrev_b64 v[50:51], 4, v[50:51]
	v_mad_u64_u32 v[56:57], s[0:1], s8, v66, v[48:49]
	v_add_co_u32_e64 v48, s[0:1], v64, v50
	v_addc_co_u32_e64 v49, s[0:1], v65, v51, s[0:1]
	v_mov_b32_e32 v53, v55
	global_load_dwordx4 v[48:51], v[48:49], off
	v_add_u32_e32 v57, s10, v57
	v_add_co_u32_e64 v62, s[0:1], s3, v56
	v_lshlrev_b64 v[60:61], 4, v[52:53]
	global_load_dwordx4 v[52:55], v[56:57], off
	v_addc_co_u32_e64 v63, s[0:1], v57, v58, s[0:1]
	global_load_dwordx4 v[56:59], v[62:63], off
	v_mov_b32_e32 v67, s2
	v_add_co_u32_e64 v68, s[0:1], s3, v62
	v_addc_co_u32_e64 v69, s[0:1], v63, v67, s[0:1]
	v_mad_u64_u32 v[81:82], s[0:1], s8, v66, v[68:69]
	v_add_co_u32_e64 v70, s[0:1], v64, v60
	v_addc_co_u32_e64 v71, s[0:1], v65, v61, s[0:1]
	global_load_dwordx4 v[60:63], v[68:69], off
	global_load_dwordx4 v[64:67], v[70:71], off
	v_add_u32_e32 v82, s10, v82
	v_mov_b32_e32 v83, s2
	v_add_co_u32_e64 v89, s[0:1], s3, v81
	global_load_dwordx4 v[68:71], v[81:82], off
	global_load_dwordx4 v[72:75], v187, s[14:15] offset:1536
	global_load_dwordx4 v[76:79], v187, s[14:15] offset:1728
	v_addc_co_u32_e64 v90, s[0:1], v82, v83, s[0:1]
	global_load_dwordx4 v[81:84], v[89:90], off
	global_load_dwordx4 v[85:88], v187, s[14:15] offset:1920
	s_waitcnt vmcnt(19)
	v_mul_f64 v[89:90], v[2:3], v[10:11]
	v_mul_f64 v[10:11], v[0:1], v[10:11]
	s_waitcnt vmcnt(18)
	v_mul_f64 v[91:92], v[6:7], v[14:15]
	v_mul_f64 v[14:15], v[4:5], v[14:15]
	v_fma_f64 v[0:1], v[0:1], v[8:9], v[89:90]
	v_fma_f64 v[2:3], v[2:3], v[8:9], -v[10:11]
	v_fma_f64 v[4:5], v[4:5], v[12:13], v[91:92]
	v_fma_f64 v[6:7], v[6:7], v[12:13], -v[14:15]
	s_waitcnt vmcnt(15)
	v_mul_f64 v[89:90], v[26:27], v[18:19]
	v_mul_f64 v[18:19], v[24:25], v[18:19]
	s_waitcnt vmcnt(14)
	v_mul_f64 v[93:94], v[30:31], v[22:23]
	v_mul_f64 v[22:23], v[28:29], v[22:23]
	v_fma_f64 v[8:9], v[24:25], v[16:17], v[89:90]
	v_fma_f64 v[10:11], v[26:27], v[16:17], -v[18:19]
	v_lshl_add_u32 v18, v185, 4, v189
	ds_write_b128 v18, v[0:3]
	v_fma_f64 v[12:13], v[28:29], v[20:21], v[93:94]
	v_fma_f64 v[14:15], v[30:31], v[20:21], -v[22:23]
	s_waitcnt vmcnt(9)
	v_mul_f64 v[91:92], v[50:51], v[34:35]
	v_mul_f64 v[16:17], v[48:49], v[34:35]
	s_waitcnt vmcnt(8)
	v_mul_f64 v[18:19], v[54:55], v[38:39]
	v_mul_f64 v[20:21], v[52:53], v[38:39]
	;; [unrolled: 3-line block ×3, first 2 shown]
	v_fma_f64 v[0:1], v[48:49], v[32:33], v[91:92]
	v_fma_f64 v[2:3], v[50:51], v[32:33], -v[16:17]
	v_add_u32_e32 v32, v189, v187
	ds_write_b128 v32, v[4:7] offset:192
	ds_write_b128 v32, v[8:11] offset:384
	v_fma_f64 v[4:5], v[52:53], v[36:37], v[18:19]
	v_fma_f64 v[6:7], v[54:55], v[36:37], -v[20:21]
	v_fma_f64 v[8:9], v[56:57], v[40:41], v[22:23]
	v_fma_f64 v[10:11], v[58:59], v[40:41], -v[24:25]
	s_waitcnt vmcnt(6)
	v_mul_f64 v[16:17], v[62:63], v[46:47]
	v_mul_f64 v[18:19], v[60:61], v[46:47]
	s_waitcnt vmcnt(3)
	v_mul_f64 v[20:21], v[66:67], v[74:75]
	v_mul_f64 v[22:23], v[64:65], v[74:75]
	;; [unrolled: 3-line block ×4, first 2 shown]
	v_fma_f64 v[16:17], v[60:61], v[44:45], v[16:17]
	v_fma_f64 v[18:19], v[62:63], v[44:45], -v[18:19]
	v_fma_f64 v[20:21], v[64:65], v[72:73], v[20:21]
	v_fma_f64 v[22:23], v[66:67], v[72:73], -v[22:23]
	;; [unrolled: 2-line block ×4, first 2 shown]
	ds_write_b128 v32, v[12:15] offset:576
	ds_write_b128 v32, v[0:3] offset:768
	ds_write_b128 v32, v[4:7] offset:960
	ds_write_b128 v32, v[8:11] offset:1152
	ds_write_b128 v32, v[16:19] offset:1344
	ds_write_b128 v32, v[20:23] offset:1536
	ds_write_b128 v32, v[24:27] offset:1728
	ds_write_b128 v32, v[28:31] offset:1920
.LBB0_3:
	s_or_b64 exec, exec, s[6:7]
	s_load_dwordx2 s[0:1], s[4:5], 0x20
	s_load_dwordx2 s[2:3], s[4:5], 0x8
	s_waitcnt lgkmcnt(0)
	s_barrier
	s_waitcnt lgkmcnt(0)
                                        ; implicit-def: $vgpr20_vgpr21
                                        ; implicit-def: $vgpr24_vgpr25
                                        ; implicit-def: $vgpr28_vgpr29
                                        ; implicit-def: $vgpr32_vgpr33
                                        ; implicit-def: $vgpr36_vgpr37
                                        ; implicit-def: $vgpr40_vgpr41
                                        ; implicit-def: $vgpr44_vgpr45
                                        ; implicit-def: $vgpr48_vgpr49
                                        ; implicit-def: $vgpr52_vgpr53
                                        ; implicit-def: $vgpr56_vgpr57
                                        ; implicit-def: $vgpr60_vgpr61
	s_and_saveexec_b64 s[4:5], vcc
	s_cbranch_execz .LBB0_5
; %bb.4:
	v_lshl_add_u32 v0, v188, 4, v187
	ds_read_b128 v[20:23], v0
	ds_read_b128 v[24:27], v0 offset:192
	ds_read_b128 v[28:31], v0 offset:384
	ds_read_b128 v[32:35], v0 offset:576
	ds_read_b128 v[36:39], v0 offset:768
	ds_read_b128 v[40:43], v0 offset:960
	ds_read_b128 v[44:47], v0 offset:1152
	ds_read_b128 v[48:51], v0 offset:1344
	ds_read_b128 v[52:55], v0 offset:1536
	ds_read_b128 v[56:59], v0 offset:1728
	ds_read_b128 v[60:63], v0 offset:1920
.LBB0_5:
	s_or_b64 exec, exec, s[4:5]
	s_waitcnt lgkmcnt(0)
	v_add_f64 v[4:5], v[26:27], -v[62:63]
	s_mov_b32 s10, 0xf8bb580b
	s_mov_b32 s11, 0xbfe14ced
	v_add_f64 v[87:88], v[24:25], v[60:61]
	v_add_f64 v[8:9], v[30:31], -v[58:59]
	s_mov_b32 s6, 0x8764f0ba
	s_mov_b32 s7, 0x3feaeb8c
	;; [unrolled: 1-line block ×3, first 2 shown]
	v_mul_f64 v[64:65], v[4:5], s[10:11]
	s_mov_b32 s16, 0x8eee2c13
	v_add_f64 v[6:7], v[24:25], -v[60:61]
	v_add_f64 v[101:102], v[28:29], v[56:57]
	v_mul_f64 v[66:67], v[8:9], s[16:17]
	s_mov_b32 s4, 0xd9c712b6
	s_mov_b32 s5, 0x3fda9628
	v_add_f64 v[89:90], v[26:27], v[62:63]
	v_fma_f64 v[0:1], v[87:88], s[6:7], v[64:65]
	v_add_f64 v[10:11], v[28:29], -v[56:57]
	v_mul_f64 v[68:69], v[6:7], s[10:11]
	v_add_f64 v[12:13], v[34:35], -v[54:55]
	v_fma_f64 v[14:15], v[101:102], s[4:5], v[66:67]
	s_mov_b32 s20, 0x43842ef
	s_mov_b32 s21, 0xbfefac9e
	v_add_f64 v[105:106], v[30:31], v[58:59]
	v_add_f64 v[0:1], v[20:21], v[0:1]
	v_mul_f64 v[70:71], v[10:11], s[16:17]
	v_fma_f64 v[2:3], v[89:90], s[6:7], -v[68:69]
	v_add_f64 v[133:134], v[32:33], v[52:53]
	v_mul_f64 v[72:73], v[12:13], s[20:21]
	s_mov_b32 s8, 0x640f44db
	s_mov_b32 s24, 0xbb3a28a1
	;; [unrolled: 1-line block ×3, first 2 shown]
	v_add_f64 v[0:1], v[14:15], v[0:1]
	v_add_f64 v[14:15], v[38:39], -v[50:51]
	s_mov_b32 s25, 0xbfe82f19
	v_add_f64 v[16:17], v[32:33], -v[52:53]
	v_fma_f64 v[18:19], v[105:106], s[4:5], -v[70:71]
	v_add_f64 v[2:3], v[22:23], v[2:3]
	v_fma_f64 v[81:82], v[133:134], s[8:9], v[72:73]
	v_add_f64 v[127:128], v[36:37], v[48:49]
	s_mov_b32 s18, 0x7f775887
	v_mul_f64 v[76:77], v[14:15], s[24:25]
	s_mov_b32 s19, 0xbfe4f49e
	v_add_f64 v[135:136], v[34:35], v[54:55]
	v_mul_f64 v[74:75], v[16:17], s[20:21]
	v_add_f64 v[2:3], v[18:19], v[2:3]
	v_add_f64 v[18:19], v[36:37], -v[48:49]
	v_add_f64 v[0:1], v[81:82], v[0:1]
	v_add_f64 v[161:162], v[42:43], -v[46:47]
	v_fma_f64 v[91:92], v[127:128], s[18:19], v[76:77]
	v_mul_f64 v[85:86], v[4:5], s[16:17]
	s_mov_b32 s26, 0xfd768dbf
	s_mov_b32 s27, 0xbfd207e7
	v_fma_f64 v[83:84], v[135:136], s[8:9], -v[74:75]
	v_add_f64 v[125:126], v[38:39], v[50:51]
	v_mul_f64 v[78:79], v[18:19], s[24:25]
	v_add_f64 v[177:178], v[40:41], -v[44:45]
	v_add_f64 v[129:130], v[40:41], v[44:45]
	v_mul_f64 v[81:82], v[161:162], s[26:27]
	v_add_f64 v[0:1], v[91:92], v[0:1]
	v_fma_f64 v[95:96], v[87:88], s[4:5], v[85:86]
	v_mul_f64 v[91:92], v[8:9], s[24:25]
	v_mul_f64 v[115:116], v[6:7], s[16:17]
	s_mov_b32 s22, 0x9bcd5057
	s_mov_b32 s23, 0xbfeeb42a
	v_add_f64 v[2:3], v[83:84], v[2:3]
	v_fma_f64 v[93:94], v[125:126], s[18:19], -v[78:79]
	v_add_f64 v[139:140], v[42:43], v[46:47]
	v_mul_f64 v[83:84], v[177:178], s[26:27]
	v_fma_f64 v[99:100], v[129:130], s[22:23], v[81:82]
	v_add_f64 v[95:96], v[20:21], v[95:96]
	v_fma_f64 v[107:108], v[101:102], s[18:19], v[91:92]
	v_fma_f64 v[109:110], v[89:90], s[4:5], -v[115:116]
	v_mul_f64 v[97:98], v[10:11], s[24:25]
	s_mov_b32 s29, 0x3fd207e7
	s_mov_b32 s28, s26
	v_add_f64 v[2:3], v[93:94], v[2:3]
	v_fma_f64 v[103:104], v[139:140], s[22:23], -v[83:84]
	v_mul_f64 v[93:94], v[12:13], s[28:29]
	v_add_f64 v[0:1], v[99:100], v[0:1]
	v_add_f64 v[99:100], v[107:108], v[95:96]
	v_add_f64 v[109:110], v[22:23], v[109:110]
	v_fma_f64 v[111:112], v[105:106], s[18:19], -v[97:98]
	v_mul_f64 v[107:108], v[4:5], s[20:21]
	v_mul_f64 v[141:142], v[6:7], s[20:21]
	s_mov_b32 s31, 0x3fefac9e
	s_mov_b32 s30, s20
	v_add_f64 v[2:3], v[103:104], v[2:3]
	v_fma_f64 v[113:114], v[133:134], s[22:23], v[93:94]
	v_mul_f64 v[103:104], v[16:17], s[28:29]
	v_mul_f64 v[95:96], v[14:15], s[30:31]
	v_add_f64 v[117:118], v[111:112], v[109:110]
	v_fma_f64 v[119:120], v[87:88], s[8:9], v[107:108]
	v_mul_f64 v[111:112], v[8:9], s[28:29]
	v_fma_f64 v[121:122], v[89:90], s[8:9], -v[141:142]
	v_mul_f64 v[143:144], v[10:11], s[28:29]
	s_mov_b32 s17, 0x3fed1bb4
	v_add_f64 v[99:100], v[113:114], v[99:100]
	v_fma_f64 v[123:124], v[135:136], s[22:23], -v[103:104]
	v_fma_f64 v[131:132], v[127:128], s[8:9], v[95:96]
	v_mul_f64 v[109:110], v[18:19], s[30:31]
	v_add_f64 v[119:120], v[20:21], v[119:120]
	v_fma_f64 v[137:138], v[101:102], s[22:23], v[111:112]
	v_add_f64 v[145:146], v[22:23], v[121:122]
	v_fma_f64 v[147:148], v[105:106], s[22:23], -v[143:144]
	v_mul_f64 v[113:114], v[12:13], s[16:17]
	v_mul_f64 v[121:122], v[16:17], s[16:17]
	v_add_f64 v[149:150], v[123:124], v[117:118]
	v_add_f64 v[190:191], v[131:132], v[99:100]
	v_fma_f64 v[131:132], v[125:126], s[8:9], -v[109:110]
	v_add_f64 v[137:138], v[137:138], v[119:120]
	v_mul_f64 v[117:118], v[14:15], s[10:11]
	v_add_f64 v[145:146], v[147:148], v[145:146]
	v_fma_f64 v[147:148], v[133:134], s[4:5], v[113:114]
	v_fma_f64 v[151:152], v[135:136], s[4:5], -v[121:122]
	v_mul_f64 v[123:124], v[18:19], s[10:11]
	v_mul_f64 v[155:156], v[6:7], s[24:25]
	v_add_f64 v[192:193], v[131:132], v[149:150]
	v_mul_f64 v[169:170], v[4:5], s[26:27]
	v_mul_f64 v[181:182], v[6:7], s[26:27]
	s_mov_b32 s29, 0x3fe14ced
	v_add_f64 v[147:148], v[147:148], v[137:138]
	v_add_f64 v[149:150], v[151:152], v[145:146]
	v_fma_f64 v[151:152], v[127:128], s[6:7], v[117:118]
	v_mul_f64 v[145:146], v[4:5], s[24:25]
	v_fma_f64 v[153:154], v[125:126], s[6:7], -v[123:124]
	s_mov_b32 s28, s10
	v_mul_f64 v[163:164], v[16:17], s[10:11]
	v_fma_f64 v[159:160], v[87:88], s[22:23], v[169:170]
	v_mul_f64 v[173:174], v[8:9], s[28:29]
	v_mul_f64 v[183:184], v[10:11], s[28:29]
	v_add_f64 v[198:199], v[151:152], v[147:148]
	v_fma_f64 v[151:152], v[87:88], s[18:19], v[145:146]
	v_add_f64 v[200:201], v[153:154], v[149:150]
	v_mul_f64 v[147:148], v[8:9], s[30:31]
	v_fma_f64 v[149:150], v[89:90], s[18:19], -v[155:156]
	v_mul_f64 v[153:154], v[10:11], s[30:31]
	v_fma_f64 v[8:9], v[89:90], s[22:23], -v[181:182]
	v_fma_f64 v[167:168], v[101:102], s[6:7], v[173:174]
	v_fma_f64 v[171:172], v[105:106], s[6:7], -v[183:184]
	v_add_f64 v[4:5], v[20:21], v[151:152]
	v_mul_f64 v[179:180], v[16:17], s[24:25]
	v_fma_f64 v[6:7], v[101:102], s[8:9], v[147:148]
	v_add_f64 v[151:152], v[22:23], v[149:150]
	v_fma_f64 v[157:158], v[105:106], s[8:9], -v[153:154]
	v_mul_f64 v[149:150], v[12:13], s[10:11]
	v_add_f64 v[8:9], v[22:23], v[8:9]
	v_mul_f64 v[165:166], v[18:19], s[26:27]
	v_mul_f64 v[175:176], v[18:19], s[16:17]
	v_fma_f64 v[16:17], v[135:136], s[18:19], -v[179:180]
	v_add_f64 v[4:5], v[6:7], v[4:5]
	v_mul_f64 v[99:100], v[161:162], s[28:29]
	v_add_f64 v[6:7], v[157:158], v[151:152]
	v_fma_f64 v[10:11], v[133:134], s[6:7], v[149:150]
	v_fma_f64 v[151:152], v[135:136], s[6:7], -v[163:164]
	v_add_f64 v[157:158], v[20:21], v[159:160]
	v_mul_f64 v[159:160], v[12:13], s[24:25]
	v_add_f64 v[8:9], v[171:172], v[8:9]
	v_mul_f64 v[119:120], v[177:178], s[28:29]
	v_mul_f64 v[131:132], v[161:162], s[24:25]
	;; [unrolled: 1-line block ×3, first 2 shown]
	v_add_f64 v[4:5], v[10:11], v[4:5]
	v_add_f64 v[6:7], v[151:152], v[6:7]
	v_mul_f64 v[151:152], v[14:15], s[26:27]
	v_add_f64 v[10:11], v[167:168], v[157:158]
	v_fma_f64 v[12:13], v[133:134], s[18:19], v[159:160]
	v_mul_f64 v[167:168], v[14:15], s[16:17]
	v_fma_f64 v[18:19], v[125:126], s[22:23], -v[165:166]
	v_mul_f64 v[157:158], v[161:162], s[16:17]
	v_mul_f64 v[171:172], v[177:178], s[16:17]
	v_add_f64 v[8:9], v[16:17], v[8:9]
	v_fma_f64 v[14:15], v[127:128], s[22:23], v[151:152]
	v_fma_f64 v[16:17], v[125:126], s[4:5], -v[175:176]
	v_add_f64 v[10:11], v[12:13], v[10:11]
	v_fma_f64 v[12:13], v[127:128], s[4:5], v[167:168]
	v_mul_f64 v[161:162], v[161:162], s[20:21]
	v_mul_f64 v[177:178], v[177:178], s[20:21]
	v_fma_f64 v[194:195], v[129:130], s[6:7], v[99:100]
	v_fma_f64 v[196:197], v[139:140], s[6:7], -v[119:120]
	v_fma_f64 v[202:203], v[129:130], s[18:19], v[131:132]
	v_fma_f64 v[204:205], v[139:140], s[18:19], -v[137:138]
	v_add_f64 v[4:5], v[14:15], v[4:5]
	v_add_f64 v[6:7], v[18:19], v[6:7]
	v_fma_f64 v[206:207], v[129:130], s[4:5], v[157:158]
	v_fma_f64 v[208:209], v[139:140], s[4:5], -v[171:172]
	v_add_f64 v[210:211], v[12:13], v[10:11]
	v_add_f64 v[212:213], v[16:17], v[8:9]
	;; [unrolled: 4-line block ×3, first 2 shown]
	v_add_f64 v[12:13], v[202:203], v[198:199]
	v_add_f64 v[14:15], v[204:205], v[200:201]
	;; [unrolled: 1-line block ×6, first 2 shown]
	v_mul_lo_u16_e32 v190, 11, v185
	s_barrier
	s_and_saveexec_b64 s[10:11], vcc
	s_cbranch_execz .LBB0_7
; %bb.6:
	v_mul_f64 v[193:194], v[89:90], s[6:7]
	v_mul_f64 v[197:198], v[89:90], s[4:5]
	;; [unrolled: 1-line block ×15, first 2 shown]
	v_add_f64 v[89:90], v[181:182], v[89:90]
	v_add_f64 v[155:156], v[155:156], v[205:206]
	;; [unrolled: 1-line block ×4, first 2 shown]
	v_mul_f64 v[207:208], v[101:102], s[4:5]
	v_mul_f64 v[211:212], v[101:102], s[18:19]
	;; [unrolled: 1-line block ×10, first 2 shown]
	v_add_f64 v[105:106], v[183:184], v[105:106]
	v_add_f64 v[89:90], v[22:23], v[89:90]
	v_add_f64 v[87:88], v[87:88], -v[169:170]
	v_add_f64 v[153:154], v[153:154], v[221:222]
	v_add_f64 v[155:156], v[22:23], v[155:156]
	;; [unrolled: 1-line block ×4, first 2 shown]
	v_mul_f64 v[223:224], v[133:134], s[8:9]
	v_mul_f64 v[227:228], v[133:134], s[22:23]
	;; [unrolled: 1-line block ×10, first 2 shown]
	v_add_f64 v[135:136], v[179:180], v[135:136]
	v_add_f64 v[89:90], v[105:106], v[89:90]
	v_add_f64 v[101:102], v[101:102], -v[173:174]
	v_add_f64 v[163:164], v[163:164], v[237:238]
	v_add_f64 v[87:88], v[20:21], v[87:88]
	;; [unrolled: 1-line block ×5, first 2 shown]
	v_mul_f64 v[239:240], v[127:128], s[18:19]
	v_mul_f64 v[243:244], v[127:128], s[8:9]
	;; [unrolled: 1-line block ×8, first 2 shown]
	v_add_f64 v[145:146], v[203:204], -v[145:146]
	v_mul_f64 v[203:204], v[139:140], s[4:5]
	v_mul_f64 v[139:140], v[139:140], s[8:9]
	v_add_f64 v[125:126], v[175:176], v[125:126]
	v_add_f64 v[89:90], v[135:136], v[89:90]
	v_add_f64 v[133:134], v[133:134], -v[159:160]
	v_add_f64 v[87:88], v[101:102], v[87:88]
	v_add_f64 v[101:102], v[165:166], v[205:206]
	v_add_f64 v[135:136], v[219:220], -v[147:148]
	v_add_f64 v[147:148], v[163:164], v[153:154]
	v_add_f64 v[26:27], v[26:27], v[38:39]
	;; [unrolled: 1-line block ×5, first 2 shown]
	v_add_f64 v[125:126], v[127:128], -v[167:168]
	v_add_f64 v[127:128], v[133:134], v[87:88]
	v_add_f64 v[133:134], v[171:172], v[203:204]
	;; [unrolled: 1-line block ×8, first 2 shown]
	v_add_f64 v[40:41], v[191:192], -v[64:65]
	v_add_f64 v[107:108], v[199:200], -v[107:108]
	;; [unrolled: 1-line block ×3, first 2 shown]
	v_add_f64 v[87:88], v[139:140], v[89:90]
	v_add_f64 v[101:102], v[133:134], v[101:102]
	;; [unrolled: 1-line block ×10, first 2 shown]
	v_add_f64 v[66:67], v[207:208], -v[66:67]
	v_add_f64 v[40:41], v[20:21], v[40:41]
	v_add_f64 v[145:146], v[20:21], v[145:146]
	v_add_f64 v[107:108], v[20:21], v[107:108]
	v_add_f64 v[64:65], v[211:212], -v[91:92]
	v_add_f64 v[20:21], v[20:21], v[42:43]
	v_add_f64 v[30:31], v[215:216], -v[111:112]
	v_add_f64 v[121:122], v[121:122], v[233:234]
	v_add_f64 v[133:134], v[133:134], v[139:140]
	;; [unrolled: 1-line block ×8, first 2 shown]
	v_add_f64 v[46:47], v[223:224], -v[72:73]
	v_add_f64 v[40:41], v[66:67], v[40:41]
	v_add_f64 v[42:43], v[227:228], -v[93:94]
	v_add_f64 v[20:21], v[64:65], v[20:21]
	;; [unrolled: 2-line block ×4, first 2 shown]
	v_add_f64 v[28:29], v[123:124], v[247:248]
	v_add_f64 v[111:112], v[121:122], v[133:134]
	v_add_f64 v[107:108], v[109:110], v[245:246]
	v_add_f64 v[97:98], v[103:104], v[97:98]
	v_add_f64 v[26:27], v[26:27], v[54:55]
	v_add_f64 v[24:25], v[24:25], v[52:53]
	v_mul_f64 v[179:180], v[129:130], s[22:23]
	v_add_f64 v[50:51], v[78:79], v[241:242]
	v_add_f64 v[22:23], v[44:45], v[22:23]
	v_add_f64 v[44:45], v[239:240], -v[76:77]
	v_add_f64 v[40:41], v[46:47], v[40:41]
	v_mul_f64 v[221:222], v[129:130], s[6:7]
	v_add_f64 v[48:49], v[243:244], -v[95:96]
	v_add_f64 v[20:21], v[42:43], v[20:21]
	v_mul_f64 v[173:174], v[129:130], s[18:19]
	;; [unrolled: 3-line block ×3, first 2 shown]
	v_mul_f64 v[129:130], v[129:130], s[4:5]
	v_add_f64 v[125:126], v[125:126], v[127:128]
	v_add_f64 v[127:128], v[183:184], -v[151:152]
	v_add_f64 v[135:136], v[149:150], v[135:136]
	v_add_f64 v[32:33], v[137:138], v[237:238]
	;; [unrolled: 1-line block ×9, first 2 shown]
	v_add_f64 v[52:53], v[179:180], -v[81:82]
	v_add_f64 v[40:41], v[44:45], v[40:41]
	v_add_f64 v[42:43], v[221:222], -v[99:100]
	v_add_f64 v[20:21], v[48:49], v[20:21]
	;; [unrolled: 2-line block ×5, first 2 shown]
	v_add_f64 v[26:27], v[34:35], v[97:98]
	v_add_f64 v[34:35], v[54:55], v[62:63]
	;; [unrolled: 1-line block ×9, first 2 shown]
	v_add_lshl_u32 v36, v188, v190, 4
	ds_write_b128 v36, v[32:35]
	ds_write_b128 v36, v[28:31] offset:16
	ds_write_b128 v36, v[24:27] offset:32
	;; [unrolled: 1-line block ×10, first 2 shown]
.LBB0_7:
	s_or_b64 exec, exec, s[10:11]
	s_load_dwordx4 s[4:7], s[0:1], 0x0
	v_add_u32_e32 v20, -11, v185
	v_cmp_gt_u16_e64 s[0:1], 11, v185
	v_cndmask_b32_e64 v64, v20, v185, s[0:1]
	v_mul_i32_i24_e32 v21, 0x50, v64
	v_mul_hi_i32_i24_e32 v20, 0x50, v64
	v_mov_b32_e32 v22, s3
	v_add_co_u32_e64 v40, s[0:1], s2, v21
	v_addc_co_u32_e64 v41, s[0:1], v22, v20, s[0:1]
	s_waitcnt lgkmcnt(0)
	s_barrier
	global_load_dwordx4 v[20:23], v[40:41], off
	global_load_dwordx4 v[28:31], v[40:41], off offset:16
	global_load_dwordx4 v[24:27], v[40:41], off offset:32
	global_load_dwordx4 v[32:35], v[40:41], off offset:64
	global_load_dwordx4 v[36:39], v[40:41], off offset:48
	v_add_lshl_u32 v94, v188, v185, 4
	ds_read_b128 v[40:43], v94
	ds_read_b128 v[44:47], v94 offset:352
	ds_read_b128 v[48:51], v94 offset:704
	;; [unrolled: 1-line block ×5, first 2 shown]
	v_mov_b32_e32 v65, 0x42
	v_cmp_lt_u16_e64 s[0:1], 10, v185
	v_cndmask_b32_e64 v65, 0, v65, s[0:1]
	v_add_u32_e32 v64, v64, v65
	v_add_lshl_u32 v95, v188, v64, 4
	s_mov_b32 s8, 0xe8584caa
	s_mov_b32 s9, 0x3febb67a
	;; [unrolled: 1-line block ×4, first 2 shown]
	s_waitcnt vmcnt(0) lgkmcnt(0)
	s_barrier
	v_lshl_add_u32 v93, v185, 4, v189
	v_mul_f64 v[64:65], v[46:47], v[22:23]
	v_mul_f64 v[66:67], v[44:45], v[22:23]
	;; [unrolled: 1-line block ×10, first 2 shown]
	v_fma_f64 v[52:53], v[52:53], v[24:25], -v[70:71]
	v_fma_f64 v[54:55], v[54:55], v[24:25], v[72:73]
	v_fma_f64 v[62:63], v[62:63], v[32:33], v[74:75]
	v_fma_f64 v[60:61], v[60:61], v[32:33], -v[76:77]
	v_fma_f64 v[48:49], v[48:49], v[28:29], -v[68:69]
	v_fma_f64 v[44:45], v[44:45], v[20:21], -v[64:65]
	v_fma_f64 v[46:47], v[46:47], v[20:21], v[66:67]
	v_fma_f64 v[50:51], v[50:51], v[28:29], v[78:79]
	v_fma_f64 v[56:57], v[56:57], v[36:37], -v[81:82]
	v_fma_f64 v[58:59], v[58:59], v[36:37], v[83:84]
	v_add_f64 v[64:65], v[54:55], v[62:63]
	v_add_f64 v[66:67], v[52:53], v[60:61]
	;; [unrolled: 1-line block ×3, first 2 shown]
	v_add_f64 v[76:77], v[54:55], -v[62:63]
	v_add_f64 v[78:79], v[52:53], -v[60:61]
	v_add_f64 v[74:75], v[42:43], v[50:51]
	v_add_f64 v[70:71], v[48:49], v[56:57]
	v_add_f64 v[72:73], v[50:51], -v[58:59]
	v_fma_f64 v[64:65], v[64:65], -0.5, v[46:47]
	v_fma_f64 v[66:67], v[66:67], -0.5, v[44:45]
	v_add_f64 v[50:51], v[50:51], v[58:59]
	v_add_f64 v[48:49], v[48:49], -v[56:57]
	v_add_f64 v[44:45], v[44:45], v[52:53]
	v_add_f64 v[46:47], v[46:47], v[54:55]
	;; [unrolled: 1-line block ×3, first 2 shown]
	v_fma_f64 v[40:41], v[70:71], -0.5, v[40:41]
	v_fma_f64 v[54:55], v[78:79], s[10:11], v[64:65]
	v_fma_f64 v[56:57], v[76:77], s[10:11], v[66:67]
	;; [unrolled: 1-line block ×4, first 2 shown]
	v_fma_f64 v[42:43], v[50:51], -0.5, v[42:43]
	v_add_f64 v[46:47], v[46:47], v[62:63]
	v_add_f64 v[44:45], v[44:45], v[60:61]
	;; [unrolled: 1-line block ×3, first 2 shown]
	v_mul_f64 v[50:51], v[54:55], s[8:9]
	v_mul_f64 v[60:61], v[56:57], -0.5
	v_mul_f64 v[62:63], v[66:67], s[10:11]
	v_mul_f64 v[68:69], v[64:65], -0.5
	v_fma_f64 v[70:71], v[72:73], s[8:9], v[40:41]
	v_fma_f64 v[74:75], v[48:49], s[10:11], v[42:43]
	;; [unrolled: 1-line block ×4, first 2 shown]
	v_fma_f64 v[66:67], v[66:67], 0.5, v[50:51]
	v_fma_f64 v[60:61], v[64:65], s[8:9], v[60:61]
	v_fma_f64 v[62:63], v[54:55], 0.5, v[62:63]
	v_fma_f64 v[64:65], v[56:57], s[10:11], v[68:69]
	v_add_f64 v[40:41], v[52:53], v[44:45]
	v_add_f64 v[42:43], v[58:59], v[46:47]
	v_add_f64 v[44:45], v[52:53], -v[44:45]
	v_add_f64 v[46:47], v[58:59], -v[46:47]
	v_add_f64 v[48:49], v[70:71], v[66:67]
	v_add_f64 v[52:53], v[72:73], v[60:61]
	;; [unrolled: 1-line block ×4, first 2 shown]
	v_add_f64 v[56:57], v[70:71], -v[66:67]
	v_add_f64 v[58:59], v[74:75], -v[62:63]
	;; [unrolled: 1-line block ×4, first 2 shown]
	ds_write_b128 v95, v[40:43]
	ds_write_b128 v95, v[44:47] offset:528
	ds_write_b128 v95, v[48:51] offset:176
	;; [unrolled: 1-line block ×5, first 2 shown]
	s_waitcnt lgkmcnt(0)
	s_barrier
	global_load_dwordx4 v[40:43], v187, s[2:3] offset:880
	global_load_dwordx4 v[44:47], v187, s[2:3] offset:1232
	;; [unrolled: 1-line block ×3, first 2 shown]
	ds_read_b128 v[52:55], v94 offset:1056
	ds_read_b128 v[56:59], v94 offset:1408
	;; [unrolled: 1-line block ×4, first 2 shown]
	ds_read_b128 v[64:67], v94
	ds_read_b128 v[76:79], v94 offset:352
	s_waitcnt vmcnt(2) lgkmcnt(5)
	v_mul_f64 v[68:69], v[54:55], v[42:43]
	v_mul_f64 v[70:71], v[52:53], v[42:43]
	s_waitcnt vmcnt(1) lgkmcnt(4)
	v_mul_f64 v[81:82], v[58:59], v[46:47]
	v_mul_f64 v[83:84], v[56:57], v[46:47]
	s_waitcnt vmcnt(0) lgkmcnt(2)
	v_mul_f64 v[85:86], v[62:63], v[50:51]
	v_mul_f64 v[87:88], v[60:61], v[50:51]
	v_fma_f64 v[52:53], v[52:53], v[40:41], -v[68:69]
	v_fma_f64 v[54:55], v[54:55], v[40:41], v[70:71]
	v_fma_f64 v[68:69], v[56:57], v[44:45], -v[81:82]
	v_fma_f64 v[70:71], v[58:59], v[44:45], v[83:84]
	;; [unrolled: 2-line block ×3, first 2 shown]
	s_waitcnt lgkmcnt(1)
	v_add_f64 v[56:57], v[64:65], -v[52:53]
	v_add_f64 v[58:59], v[66:67], -v[54:55]
	s_waitcnt lgkmcnt(0)
	v_add_f64 v[60:61], v[76:77], -v[68:69]
	v_add_f64 v[62:63], v[78:79], -v[70:71]
	;; [unrolled: 1-line block ×4, first 2 shown]
	v_fma_f64 v[52:53], v[64:65], 2.0, -v[56:57]
	v_fma_f64 v[54:55], v[66:67], 2.0, -v[58:59]
	;; [unrolled: 1-line block ×6, first 2 shown]
	v_add_u32_e32 v76, v187, v189
	ds_write_b128 v93, v[56:59] offset:1056
	ds_write_b128 v93, v[60:63] offset:1408
	ds_write_b128 v93, v[52:55]
	ds_write_b128 v93, v[64:67] offset:352
	ds_write_b128 v93, v[72:75] offset:704
	;; [unrolled: 1-line block ×3, first 2 shown]
	s_waitcnt lgkmcnt(0)
	s_barrier
	s_and_saveexec_b64 s[0:1], vcc
	s_cbranch_execz .LBB0_9
; %bb.8:
	global_load_dwordx4 v[81:84], v187, s[14:15] offset:2112
	s_add_u32 s2, s14, 0x840
	s_addc_u32 s3, s15, 0
	global_load_dwordx4 v[85:88], v187, s[2:3] offset:192
	global_load_dwordx4 v[89:92], v187, s[2:3] offset:384
	;; [unrolled: 1-line block ×10, first 2 shown]
	ds_read_b128 v[128:131], v93
	ds_read_b128 v[132:135], v93 offset:192
	ds_read_b128 v[136:139], v93 offset:384
	ds_read_b128 v[140:143], v93 offset:576
	ds_read_b128 v[144:147], v93 offset:768
	ds_read_b128 v[148:151], v93 offset:960
	ds_read_b128 v[152:155], v93 offset:1152
	ds_read_b128 v[156:159], v93 offset:1344
	ds_read_b128 v[160:163], v93 offset:1536
	ds_read_b128 v[164:167], v93 offset:1728
	ds_read_b128 v[168:171], v93 offset:1920
	s_waitcnt vmcnt(9) lgkmcnt(9)
	v_mul_f64 v[172:173], v[134:135], v[87:88]
	v_mul_f64 v[87:88], v[132:133], v[87:88]
	s_waitcnt vmcnt(8) lgkmcnt(8)
	v_mul_f64 v[174:175], v[138:139], v[91:92]
	v_mul_f64 v[91:92], v[136:137], v[91:92]
	;; [unrolled: 3-line block ×3, first 2 shown]
	v_mul_f64 v[77:78], v[130:131], v[83:84]
	v_mul_f64 v[83:84], v[128:129], v[83:84]
	s_waitcnt vmcnt(6) lgkmcnt(6)
	v_mul_f64 v[178:179], v[146:147], v[102:103]
	v_mul_f64 v[102:103], v[144:145], v[102:103]
	s_waitcnt vmcnt(5) lgkmcnt(5)
	;; [unrolled: 3-line block ×7, first 2 shown]
	v_mul_f64 v[197:198], v[170:171], v[126:127]
	v_mul_f64 v[199:200], v[168:169], v[126:127]
	v_fma_f64 v[126:127], v[128:129], v[81:82], -v[77:78]
	v_fma_f64 v[128:129], v[130:131], v[81:82], v[83:84]
	v_fma_f64 v[81:82], v[132:133], v[85:86], -v[172:173]
	v_fma_f64 v[83:84], v[134:135], v[85:86], v[87:88]
	v_fma_f64 v[85:86], v[136:137], v[89:90], -v[174:175]
	v_fma_f64 v[87:88], v[138:139], v[89:90], v[91:92]
	v_fma_f64 v[89:90], v[140:141], v[96:97], -v[176:177]
	v_fma_f64 v[91:92], v[142:143], v[96:97], v[98:99]
	v_fma_f64 v[96:97], v[144:145], v[100:101], -v[178:179]
	v_fma_f64 v[98:99], v[146:147], v[100:101], v[102:103]
	v_fma_f64 v[100:101], v[148:149], v[104:105], -v[180:181]
	v_fma_f64 v[102:103], v[150:151], v[104:105], v[106:107]
	v_fma_f64 v[104:105], v[152:153], v[108:109], -v[182:183]
	v_fma_f64 v[106:107], v[154:155], v[108:109], v[110:111]
	v_fma_f64 v[108:109], v[156:157], v[112:113], -v[191:192]
	v_fma_f64 v[110:111], v[158:159], v[112:113], v[114:115]
	v_fma_f64 v[112:113], v[160:161], v[116:117], -v[193:194]
	v_fma_f64 v[114:115], v[162:163], v[116:117], v[118:119]
	v_fma_f64 v[116:117], v[164:165], v[120:121], -v[195:196]
	v_fma_f64 v[118:119], v[166:167], v[120:121], v[122:123]
	v_fma_f64 v[120:121], v[168:169], v[124:125], -v[197:198]
	v_fma_f64 v[122:123], v[170:171], v[124:125], v[199:200]
	ds_write_b128 v93, v[126:129]
	ds_write_b128 v93, v[81:84] offset:192
	ds_write_b128 v93, v[85:88] offset:384
	;; [unrolled: 1-line block ×10, first 2 shown]
.LBB0_9:
	s_or_b64 exec, exec, s[0:1]
	s_waitcnt lgkmcnt(0)
	s_barrier
	s_and_saveexec_b64 s[0:1], vcc
	s_cbranch_execz .LBB0_11
; %bb.10:
	ds_read_b128 v[52:55], v93
	ds_read_b128 v[56:59], v93 offset:192
	ds_read_b128 v[64:67], v93 offset:384
	;; [unrolled: 1-line block ×10, first 2 shown]
.LBB0_11:
	s_or_b64 exec, exec, s[0:1]
	v_add_u32_e32 v96, 0x2c0, v76
	s_waitcnt lgkmcnt(0)
	s_barrier
	s_and_saveexec_b64 s[0:1], vcc
	s_cbranch_execz .LBB0_13
; %bb.12:
	v_add_f64 v[117:118], v[56:57], -v[0:1]
	v_add_f64 v[121:122], v[58:59], -v[2:3]
	s_mov_b32 s22, 0xfd768dbf
	s_mov_b32 s23, 0xbfd207e7
	v_add_f64 v[119:120], v[64:65], -v[16:17]
	v_add_f64 v[123:124], v[58:59], v[2:3]
	v_add_f64 v[125:126], v[66:67], -v[18:19]
	v_add_f64 v[127:128], v[56:57], v[0:1]
	v_mul_f64 v[99:100], v[117:118], s[22:23]
	v_mul_f64 v[103:104], v[121:122], s[22:23]
	s_mov_b32 s28, 0xf8bb580b
	s_mov_b32 s20, 0x9bcd5057
	;; [unrolled: 1-line block ×4, first 2 shown]
	v_add_f64 v[91:92], v[60:61], -v[12:13]
	v_mul_f64 v[101:102], v[119:120], s[28:29]
	v_add_f64 v[129:130], v[66:67], v[18:19]
	v_fma_f64 v[105:106], v[123:124], s[20:21], v[99:100]
	v_add_f64 v[131:132], v[62:63], -v[14:15]
	v_add_f64 v[133:134], v[64:65], v[16:17]
	v_mul_f64 v[107:108], v[125:126], s[28:29]
	v_fma_f64 v[109:110], v[127:128], s[20:21], -v[103:104]
	s_mov_b32 s18, 0xbb3a28a1
	s_mov_b32 s24, 0x8764f0ba
	;; [unrolled: 1-line block ×4, first 2 shown]
	v_add_f64 v[89:90], v[72:73], -v[8:9]
	v_mul_f64 v[78:79], v[91:92], s[18:19]
	v_add_f64 v[87:88], v[62:63], v[14:15]
	v_fma_f64 v[111:112], v[129:130], s[24:25], v[101:102]
	v_add_f64 v[105:106], v[54:55], v[105:106]
	v_add_f64 v[135:136], v[74:75], -v[10:11]
	v_add_f64 v[137:138], v[60:61], v[12:13]
	v_mul_f64 v[113:114], v[131:132], s[18:19]
	v_fma_f64 v[115:116], v[133:134], s[24:25], -v[107:108]
	v_add_f64 v[109:110], v[52:53], v[109:110]
	s_mov_b32 s16, 0x7f775887
	s_mov_b32 s9, 0x3fed1bb4
	;; [unrolled: 1-line block ×4, first 2 shown]
	v_add_f64 v[83:84], v[68:69], -v[4:5]
	v_mul_f64 v[76:77], v[89:90], s[8:9]
	v_add_f64 v[85:86], v[74:75], v[10:11]
	v_fma_f64 v[139:140], v[87:88], s[16:17], v[78:79]
	v_fma_f64 v[99:100], v[123:124], s[20:21], -v[99:100]
	v_add_f64 v[105:106], v[111:112], v[105:106]
	v_add_f64 v[141:142], v[70:71], -v[6:7]
	v_add_f64 v[143:144], v[72:73], v[8:9]
	v_mul_f64 v[111:112], v[135:136], s[8:9]
	v_fma_f64 v[145:146], v[137:138], s[16:17], -v[113:114]
	v_add_f64 v[109:110], v[115:116], v[109:110]
	s_mov_b32 s2, 0x43842ef
	s_mov_b32 s10, 0xd9c712b6
	;; [unrolled: 1-line block ×4, first 2 shown]
	v_add_f64 v[81:82], v[70:71], v[6:7]
	v_mul_f64 v[97:98], v[83:84], s[2:3]
	v_fma_f64 v[101:102], v[129:130], s[24:25], -v[101:102]
	v_add_f64 v[99:100], v[54:55], v[99:100]
	v_fma_f64 v[115:116], v[85:86], s[10:11], v[76:77]
	v_add_f64 v[105:106], v[139:140], v[105:106]
	v_add_f64 v[139:140], v[68:69], v[4:5]
	v_mul_f64 v[147:148], v[141:142], s[2:3]
	v_fma_f64 v[149:150], v[143:144], s[10:11], -v[111:112]
	v_add_f64 v[109:110], v[145:146], v[109:110]
	s_mov_b32 s26, 0x640f44db
	s_mov_b32 s27, 0xbfc2375f
	v_fma_f64 v[78:79], v[87:88], s[16:17], -v[78:79]
	v_add_f64 v[99:100], v[101:102], v[99:100]
	v_fma_f64 v[101:102], v[81:82], s[26:27], v[97:98]
	v_add_f64 v[105:106], v[115:116], v[105:106]
	v_fma_f64 v[115:116], v[139:140], s[26:27], -v[147:148]
	v_add_f64 v[109:110], v[149:150], v[109:110]
	v_fma_f64 v[145:146], v[85:86], s[10:11], -v[76:77]
	v_fma_f64 v[103:104], v[127:128], s[20:21], v[103:104]
	s_mov_b32 s35, 0x3fefac9e
	v_add_f64 v[99:100], v[78:79], v[99:100]
	s_mov_b32 s34, s2
	v_add_f64 v[78:79], v[101:102], v[105:106]
	v_mul_f64 v[105:106], v[117:118], s[18:19]
	v_add_f64 v[76:77], v[115:116], v[109:110]
	v_fma_f64 v[109:110], v[137:138], s[16:17], v[113:114]
	v_mul_f64 v[113:114], v[121:122], s[18:19]
	v_fma_f64 v[101:102], v[139:140], s[26:27], v[147:148]
	v_add_f64 v[99:100], v[145:146], v[99:100]
	v_fma_f64 v[107:108], v[133:134], s[24:25], v[107:108]
	v_mul_f64 v[115:116], v[119:120], s[34:35]
	v_fma_f64 v[145:146], v[123:124], s[16:17], v[105:106]
	v_add_f64 v[103:104], v[52:53], v[103:104]
	v_mul_f64 v[147:148], v[125:126], s[34:35]
	v_fma_f64 v[149:150], v[127:128], s[16:17], -v[113:114]
	s_mov_b32 s31, 0xbfe14ced
	s_mov_b32 s30, s28
	v_mul_f64 v[151:152], v[91:92], s[30:31]
	v_fma_f64 v[153:154], v[129:130], s[26:27], v[115:116]
	v_add_f64 v[145:146], v[54:55], v[145:146]
	v_add_f64 v[103:104], v[107:108], v[103:104]
	v_fma_f64 v[107:108], v[143:144], s[10:11], v[111:112]
	v_mul_f64 v[111:112], v[131:132], s[30:31]
	v_fma_f64 v[155:156], v[133:134], s[26:27], -v[147:148]
	v_add_f64 v[149:150], v[52:53], v[149:150]
	v_mul_f64 v[157:158], v[89:90], s[22:23]
	v_fma_f64 v[159:160], v[87:88], s[24:25], v[151:152]
	v_add_f64 v[145:146], v[153:154], v[145:146]
	v_add_f64 v[103:104], v[109:110], v[103:104]
	v_fma_f64 v[105:106], v[123:124], s[16:17], -v[105:106]
	v_mul_f64 v[109:110], v[135:136], s[22:23]
	v_fma_f64 v[153:154], v[137:138], s[24:25], -v[111:112]
	v_add_f64 v[149:150], v[155:156], v[149:150]
	v_mul_f64 v[155:156], v[83:84], s[8:9]
	v_fma_f64 v[161:162], v[85:86], s[20:21], v[157:158]
	v_add_f64 v[145:146], v[159:160], v[145:146]
	v_fma_f64 v[115:116], v[129:130], s[26:27], -v[115:116]
	v_add_f64 v[105:106], v[54:55], v[105:106]
	v_mul_f64 v[159:160], v[141:142], s[8:9]
	v_fma_f64 v[163:164], v[143:144], s[20:21], -v[109:110]
	v_add_f64 v[149:150], v[153:154], v[149:150]
	v_fma_f64 v[113:114], v[127:128], s[16:17], v[113:114]
	v_fma_f64 v[97:98], v[81:82], s[26:27], -v[97:98]
	v_add_f64 v[103:104], v[107:108], v[103:104]
	v_fma_f64 v[107:108], v[81:82], s[10:11], v[155:156]
	v_add_f64 v[105:106], v[115:116], v[105:106]
	v_add_f64 v[115:116], v[161:162], v[145:146]
	v_fma_f64 v[145:146], v[139:140], s[10:11], -v[159:160]
	v_add_f64 v[149:150], v[163:164], v[149:150]
	v_fma_f64 v[147:148], v[133:134], s[26:27], v[147:148]
	v_add_f64 v[113:114], v[52:53], v[113:114]
	v_fma_f64 v[151:152], v[87:88], s[24:25], -v[151:152]
	v_add_f64 v[99:100], v[97:98], v[99:100]
	v_add_f64 v[97:98], v[101:102], v[103:104]
	;; [unrolled: 1-line block ×3, first 2 shown]
	v_fma_f64 v[111:112], v[137:138], s[24:25], v[111:112]
	v_add_f64 v[101:102], v[145:146], v[149:150]
	v_mul_f64 v[115:116], v[117:118], s[2:3]
	v_add_f64 v[113:114], v[147:148], v[113:114]
	v_mul_f64 v[145:146], v[121:122], s[2:3]
	s_mov_b32 s37, 0x3fd207e7
	s_mov_b32 s36, s22
	v_fma_f64 v[153:154], v[85:86], s[20:21], -v[157:158]
	v_add_f64 v[105:106], v[151:152], v[105:106]
	v_fma_f64 v[109:110], v[143:144], s[20:21], v[109:110]
	v_mul_f64 v[147:148], v[119:120], s[36:37]
	v_fma_f64 v[149:150], v[123:124], s[26:27], v[115:116]
	v_add_f64 v[111:112], v[111:112], v[113:114]
	v_mul_f64 v[113:114], v[125:126], s[36:37]
	v_fma_f64 v[151:152], v[127:128], s[26:27], -v[145:146]
	v_fma_f64 v[107:108], v[81:82], s[10:11], -v[155:156]
	v_add_f64 v[105:106], v[153:154], v[105:106]
	v_mul_f64 v[153:154], v[91:92], s[8:9]
	v_fma_f64 v[155:156], v[129:130], s[20:21], v[147:148]
	v_add_f64 v[149:150], v[54:55], v[149:150]
	v_add_f64 v[109:110], v[109:110], v[111:112]
	v_mul_f64 v[157:158], v[131:132], s[8:9]
	v_fma_f64 v[111:112], v[123:124], s[26:27], -v[115:116]
	v_fma_f64 v[115:116], v[133:134], s[20:21], -v[113:114]
	v_add_f64 v[151:152], v[52:53], v[151:152]
	v_add_f64 v[107:108], v[107:108], v[105:106]
	v_fma_f64 v[105:106], v[139:140], s[10:11], v[159:160]
	v_mul_f64 v[159:160], v[89:90], s[30:31]
	v_fma_f64 v[161:162], v[87:88], s[10:11], v[153:154]
	v_add_f64 v[149:150], v[155:156], v[149:150]
	v_mul_f64 v[155:156], v[135:136], s[30:31]
	v_fma_f64 v[147:148], v[129:130], s[20:21], -v[147:148]
	v_add_f64 v[111:112], v[54:55], v[111:112]
	v_fma_f64 v[163:164], v[137:138], s[10:11], -v[157:158]
	v_add_f64 v[115:116], v[115:116], v[151:152]
	v_mul_f64 v[151:152], v[83:84], s[18:19]
	v_fma_f64 v[165:166], v[85:86], s[24:25], v[159:160]
	v_add_f64 v[149:150], v[161:162], v[149:150]
	v_mul_f64 v[161:162], v[141:142], s[18:19]
	v_fma_f64 v[153:154], v[87:88], s[10:11], -v[153:154]
	v_add_f64 v[111:112], v[147:148], v[111:112]
	v_fma_f64 v[147:148], v[143:144], s[24:25], -v[155:156]
	v_add_f64 v[115:116], v[163:164], v[115:116]
	v_fma_f64 v[145:146], v[127:128], s[26:27], v[145:146]
	v_add_f64 v[105:106], v[105:106], v[109:110]
	v_fma_f64 v[109:110], v[81:82], s[16:17], v[151:152]
	v_add_f64 v[149:150], v[165:166], v[149:150]
	v_fma_f64 v[159:160], v[85:86], s[24:25], -v[159:160]
	v_add_f64 v[111:112], v[153:154], v[111:112]
	v_fma_f64 v[153:154], v[139:140], s[16:17], -v[161:162]
	v_add_f64 v[115:116], v[147:148], v[115:116]
	v_fma_f64 v[113:114], v[133:134], s[20:21], v[113:114]
	v_add_f64 v[145:146], v[52:53], v[145:146]
	s_mov_b32 s9, 0xbfed1bb4
	v_add_f64 v[58:59], v[54:55], v[58:59]
	v_add_f64 v[56:57], v[52:53], v[56:57]
	;; [unrolled: 1-line block ×5, first 2 shown]
	v_fma_f64 v[153:154], v[137:138], s[10:11], v[157:158]
	v_add_f64 v[113:114], v[113:114], v[145:146]
	v_fma_f64 v[147:148], v[81:82], s[16:17], -v[151:152]
	v_mul_f64 v[151:152], v[117:118], s[8:9]
	v_mul_f64 v[149:150], v[121:122], s[8:9]
	v_fma_f64 v[145:146], v[143:144], s[24:25], v[155:156]
	v_add_f64 v[58:59], v[58:59], v[66:67]
	v_add_f64 v[64:65], v[56:57], v[64:65]
	v_mul_f64 v[157:158], v[119:120], s[18:19]
	v_add_f64 v[113:114], v[153:154], v[113:114]
	v_add_f64 v[115:116], v[147:148], v[159:160]
	v_mul_f64 v[147:148], v[125:126], s[18:19]
	v_fma_f64 v[155:156], v[127:128], s[10:11], -v[149:150]
	v_mul_f64 v[159:160], v[91:92], s[36:37]
	v_add_f64 v[58:59], v[58:59], v[62:63]
	v_add_f64 v[60:61], v[64:65], v[60:61]
	v_fma_f64 v[165:166], v[129:130], s[16:17], v[157:158]
	v_add_f64 v[113:114], v[145:146], v[113:114]
	v_fma_f64 v[145:146], v[123:124], s[10:11], -v[151:152]
	v_fma_f64 v[167:168], v[133:134], s[16:17], -v[147:148]
	v_add_f64 v[155:156], v[52:53], v[155:156]
	v_fma_f64 v[157:158], v[129:130], s[16:17], -v[157:158]
	v_fma_f64 v[163:164], v[123:124], s[10:11], v[151:152]
	v_add_f64 v[58:59], v[58:59], v[74:75]
	v_add_f64 v[60:61], v[60:61], v[72:73]
	v_fma_f64 v[153:154], v[139:140], s[16:17], v[161:162]
	v_add_f64 v[145:146], v[54:55], v[145:146]
	v_fma_f64 v[171:172], v[87:88], s[20:21], v[159:160]
	v_add_f64 v[155:156], v[167:168], v[155:156]
	v_mul_f64 v[167:168], v[83:84], s[28:29]
	v_fma_f64 v[159:160], v[87:88], s[20:21], -v[159:160]
	v_fma_f64 v[149:150], v[127:128], s[10:11], v[149:150]
	v_mul_f64 v[117:118], v[117:118], s[30:31]
	v_mul_f64 v[72:73], v[121:122], s[30:31]
	v_add_f64 v[145:146], v[157:158], v[145:146]
	v_add_f64 v[163:164], v[54:55], v[163:164]
	v_mul_f64 v[161:162], v[131:132], s[36:37]
	v_add_f64 v[58:59], v[58:59], v[70:71]
	v_add_f64 v[60:61], v[60:61], v[68:69]
	;; [unrolled: 1-line block ×3, first 2 shown]
	v_fma_f64 v[153:154], v[81:82], s[24:25], v[167:168]
	v_fma_f64 v[147:148], v[133:134], s[16:17], v[147:148]
	v_add_f64 v[149:150], v[52:53], v[149:150]
	v_add_f64 v[145:146], v[159:160], v[145:146]
	v_fma_f64 v[159:160], v[81:82], s[24:25], -v[167:168]
	v_mul_f64 v[119:120], v[119:120], s[8:9]
	v_fma_f64 v[167:168], v[123:124], s[24:25], v[117:118]
	v_fma_f64 v[117:118], v[123:124], s[24:25], -v[117:118]
	v_mul_f64 v[121:122], v[125:126], s[8:9]
	v_fma_f64 v[68:69], v[127:128], s[24:25], v[72:73]
	v_mul_f64 v[169:170], v[89:90], s[34:35]
	v_add_f64 v[163:164], v[165:166], v[163:164]
	v_fma_f64 v[165:166], v[137:138], s[20:21], -v[161:162]
	v_fma_f64 v[72:73], v[127:128], s[24:25], -v[72:73]
	v_add_f64 v[6:7], v[58:59], v[6:7]
	v_add_f64 v[4:5], v[60:61], v[4:5]
	v_add_f64 v[147:148], v[147:148], v[149:150]
	v_mul_f64 v[91:92], v[91:92], s[2:3]
	v_fma_f64 v[66:67], v[129:130], s[10:11], v[119:120]
	v_add_f64 v[149:150], v[54:55], v[167:168]
	v_mul_f64 v[70:71], v[131:132], s[2:3]
	v_fma_f64 v[119:120], v[129:130], s[10:11], -v[119:120]
	v_add_f64 v[54:55], v[54:55], v[117:118]
	v_fma_f64 v[117:118], v[133:134], s[10:11], v[121:122]
	v_add_f64 v[58:59], v[52:53], v[68:69]
	v_mul_f64 v[151:152], v[135:136], s[34:35]
	v_add_f64 v[155:156], v[165:166], v[155:156]
	v_fma_f64 v[165:166], v[85:86], s[26:27], -v[169:170]
	v_fma_f64 v[161:162], v[137:138], s[20:21], v[161:162]
	v_fma_f64 v[60:61], v[133:134], s[10:11], -v[121:122]
	v_add_f64 v[52:53], v[52:53], v[72:73]
	v_add_f64 v[6:7], v[6:7], v[10:11]
	;; [unrolled: 1-line block ×3, first 2 shown]
	v_mul_f64 v[89:90], v[89:90], s[18:19]
	v_fma_f64 v[62:63], v[87:88], s[26:27], v[91:92]
	v_add_f64 v[64:65], v[66:67], v[149:150]
	v_mul_f64 v[74:75], v[135:136], s[18:19]
	v_fma_f64 v[68:69], v[87:88], s[26:27], -v[91:92]
	v_add_f64 v[54:55], v[119:120], v[54:55]
	v_fma_f64 v[72:73], v[137:138], s[26:27], v[70:71]
	v_add_f64 v[8:9], v[117:118], v[58:59]
	v_fma_f64 v[175:176], v[143:144], s[26:27], -v[151:152]
	v_add_f64 v[145:146], v[165:166], v[145:146]
	v_fma_f64 v[151:152], v[143:144], s[26:27], v[151:152]
	v_add_f64 v[147:148], v[161:162], v[147:148]
	v_fma_f64 v[10:11], v[137:138], s[26:27], -v[70:71]
	v_add_f64 v[52:53], v[60:61], v[52:53]
	v_add_f64 v[6:7], v[6:7], v[14:15]
	;; [unrolled: 1-line block ×3, first 2 shown]
	v_mul_f64 v[83:84], v[83:84], s[22:23]
	v_add_f64 v[62:63], v[62:63], v[64:65]
	v_mul_f64 v[64:65], v[141:142], s[22:23]
	v_fma_f64 v[58:59], v[85:86], s[16:17], -v[89:90]
	v_add_f64 v[54:55], v[68:69], v[54:55]
	v_fma_f64 v[60:61], v[143:144], s[16:17], v[74:75]
	v_add_f64 v[8:9], v[72:73], v[8:9]
	v_add_f64 v[163:164], v[171:172], v[163:164]
	v_mul_f64 v[171:172], v[141:142], s[28:29]
	v_fma_f64 v[173:174], v[85:86], s[26:27], v[169:170]
	v_add_f64 v[56:57], v[159:160], v[145:146]
	v_add_f64 v[145:146], v[151:152], v[147:148]
	v_fma_f64 v[147:148], v[85:86], s[16:17], v[89:90]
	v_fma_f64 v[12:13], v[143:144], s[16:17], -v[74:75]
	v_add_f64 v[10:11], v[10:11], v[52:53]
	v_add_f64 v[6:7], v[6:7], v[18:19]
	;; [unrolled: 1-line block ×3, first 2 shown]
	v_fma_f64 v[14:15], v[81:82], s[20:21], -v[83:84]
	v_add_f64 v[52:53], v[58:59], v[54:55]
	v_fma_f64 v[54:55], v[139:140], s[20:21], v[64:65]
	v_add_f64 v[18:19], v[60:61], v[8:9]
	v_fma_f64 v[66:67], v[139:140], s[24:25], v[171:172]
	v_add_f64 v[157:158], v[173:174], v[163:164]
	v_fma_f64 v[163:164], v[139:140], s[24:25], -v[171:172]
	v_add_f64 v[155:156], v[175:176], v[155:156]
	v_fma_f64 v[58:59], v[81:82], s[20:21], v[83:84]
	v_add_f64 v[60:61], v[147:148], v[62:63]
	v_fma_f64 v[62:63], v[139:140], s[20:21], -v[64:65]
	v_add_f64 v[64:65], v[12:13], v[10:11]
	v_add_f64 v[8:9], v[6:7], v[2:3]
	;; [unrolled: 1-line block ×6, first 2 shown]
	v_lshl_add_u32 v0, v190, 4, v189
	v_add_f64 v[12:13], v[153:154], v[157:158]
	v_add_f64 v[10:11], v[163:164], v[155:156]
	;; [unrolled: 1-line block ×4, first 2 shown]
	ds_write_b128 v0, v[6:9]
	ds_write_b128 v0, v[2:5] offset:16
	ds_write_b128 v0, v[54:57] offset:32
	;; [unrolled: 1-line block ×10, first 2 shown]
.LBB0_13:
	s_or_b64 exec, exec, s[0:1]
	s_waitcnt lgkmcnt(0)
	s_barrier
	ds_read_b128 v[0:3], v94 offset:704
	ds_read_b128 v[4:7], v94 offset:1408
	;; [unrolled: 1-line block ×4, first 2 shown]
	ds_read_b128 v[16:19], v94
	ds_read_b128 v[52:55], v94 offset:352
	s_waitcnt lgkmcnt(5)
	v_mul_f64 v[56:57], v[30:31], v[2:3]
	s_waitcnt lgkmcnt(4)
	v_mul_f64 v[58:59], v[38:39], v[6:7]
	v_mul_f64 v[30:31], v[30:31], v[0:1]
	s_waitcnt lgkmcnt(3)
	v_mul_f64 v[60:61], v[26:27], v[8:9]
	v_mul_f64 v[26:27], v[26:27], v[10:11]
	s_mov_b32 s0, 0xe8584caa
	s_mov_b32 s1, 0xbfebb67a
	;; [unrolled: 1-line block ×3, first 2 shown]
	v_fma_f64 v[0:1], v[28:29], v[0:1], v[56:57]
	v_fma_f64 v[56:57], v[36:37], v[4:5], v[58:59]
	v_mul_f64 v[4:5], v[38:39], v[4:5]
	s_waitcnt lgkmcnt(2)
	v_mul_f64 v[38:39], v[34:35], v[12:13]
	s_waitcnt lgkmcnt(0)
	v_mul_f64 v[58:59], v[22:23], v[52:53]
	v_fma_f64 v[2:3], v[28:29], v[2:3], -v[30:31]
	v_fma_f64 v[10:11], v[24:25], v[10:11], -v[60:61]
	v_mul_f64 v[28:29], v[34:35], v[14:15]
	v_fma_f64 v[8:9], v[24:25], v[8:9], v[26:27]
	v_add_f64 v[30:31], v[0:1], v[56:57]
	v_fma_f64 v[4:5], v[36:37], v[6:7], -v[4:5]
	v_fma_f64 v[6:7], v[32:33], v[14:15], -v[38:39]
	v_mul_f64 v[14:15], v[22:23], v[54:55]
	v_fma_f64 v[22:23], v[20:21], v[54:55], -v[58:59]
	v_add_f64 v[34:35], v[16:17], v[0:1]
	v_fma_f64 v[12:13], v[32:33], v[12:13], v[28:29]
	s_mov_b32 s2, s0
	v_fma_f64 v[16:17], v[30:31], -0.5, v[16:17]
	v_add_f64 v[24:25], v[2:3], -v[4:5]
	v_add_f64 v[26:27], v[10:11], v[6:7]
	v_fma_f64 v[14:15], v[20:21], v[52:53], v[14:15]
	v_add_f64 v[36:37], v[10:11], -v[6:7]
	v_add_f64 v[20:21], v[34:35], v[56:57]
	v_add_f64 v[28:29], v[8:9], v[12:13]
	v_add_f64 v[32:33], v[8:9], -v[12:13]
	v_add_f64 v[34:35], v[18:19], v[2:3]
	v_fma_f64 v[30:31], v[24:25], s[0:1], v[16:17]
	v_fma_f64 v[26:27], v[26:27], -0.5, v[22:23]
	v_add_f64 v[2:3], v[2:3], v[4:5]
	v_fma_f64 v[24:25], v[24:25], s[2:3], v[16:17]
	v_add_f64 v[10:11], v[22:23], v[10:11]
	v_fma_f64 v[28:29], v[28:29], -0.5, v[14:15]
	v_add_f64 v[0:1], v[0:1], -v[56:57]
	s_barrier
	v_fma_f64 v[16:17], v[32:33], s[2:3], v[26:27]
	v_fma_f64 v[26:27], v[32:33], s[0:1], v[26:27]
	v_add_f64 v[32:33], v[34:35], v[4:5]
	v_add_f64 v[4:5], v[14:15], v[8:9]
	v_fma_f64 v[2:3], v[2:3], -0.5, v[18:19]
	v_fma_f64 v[8:9], v[36:37], s[0:1], v[28:29]
	v_fma_f64 v[14:15], v[36:37], s[2:3], v[28:29]
	v_add_f64 v[36:37], v[10:11], v[6:7]
	v_mul_f64 v[18:19], v[16:17], s[0:1]
	v_mul_f64 v[16:17], v[16:17], 0.5
	v_mul_f64 v[28:29], v[26:27], s[0:1]
	v_mul_f64 v[22:23], v[26:27], -0.5
	v_add_f64 v[12:13], v[4:5], v[12:13]
	v_fma_f64 v[26:27], v[0:1], s[2:3], v[2:3]
	v_fma_f64 v[34:35], v[0:1], s[0:1], v[2:3]
	v_add_f64 v[2:3], v[32:33], v[36:37]
	v_fma_f64 v[18:19], v[8:9], 0.5, v[18:19]
	v_fma_f64 v[38:39], v[8:9], s[2:3], v[16:17]
	v_fma_f64 v[28:29], v[14:15], -0.5, v[28:29]
	v_fma_f64 v[22:23], v[14:15], s[2:3], v[22:23]
	v_add_f64 v[0:1], v[20:21], v[12:13]
	v_add_f64 v[12:13], v[20:21], -v[12:13]
	v_add_f64 v[14:15], v[32:33], -v[36:37]
	v_add_f64 v[4:5], v[30:31], v[18:19]
	v_add_f64 v[6:7], v[26:27], v[38:39]
	;; [unrolled: 1-line block ×4, first 2 shown]
	v_add_f64 v[16:17], v[30:31], -v[18:19]
	v_add_f64 v[18:19], v[26:27], -v[38:39]
	;; [unrolled: 1-line block ×4, first 2 shown]
	ds_write_b128 v95, v[0:3]
	ds_write_b128 v95, v[4:7] offset:176
	ds_write_b128 v95, v[8:11] offset:352
	;; [unrolled: 1-line block ×5, first 2 shown]
	s_waitcnt lgkmcnt(0)
	s_barrier
	ds_read_b128 v[0:3], v94 offset:1056
	ds_read_b128 v[4:7], v94 offset:1408
	;; [unrolled: 1-line block ×4, first 2 shown]
	ds_read_b128 v[16:19], v94
	ds_read_b128 v[20:23], v94 offset:352
	s_waitcnt lgkmcnt(5)
	v_mul_f64 v[24:25], v[42:43], v[2:3]
	v_mul_f64 v[26:27], v[42:43], v[0:1]
	s_waitcnt lgkmcnt(4)
	v_mul_f64 v[28:29], v[46:47], v[6:7]
	v_mul_f64 v[30:31], v[46:47], v[4:5]
	;; [unrolled: 3-line block ×3, first 2 shown]
	v_fma_f64 v[0:1], v[40:41], v[0:1], v[24:25]
	v_fma_f64 v[2:3], v[40:41], v[2:3], -v[26:27]
	v_fma_f64 v[4:5], v[44:45], v[4:5], v[28:29]
	v_fma_f64 v[6:7], v[44:45], v[6:7], -v[30:31]
	;; [unrolled: 2-line block ×3, first 2 shown]
	s_waitcnt lgkmcnt(1)
	v_add_f64 v[0:1], v[16:17], -v[0:1]
	v_add_f64 v[2:3], v[18:19], -v[2:3]
	s_waitcnt lgkmcnt(0)
	v_add_f64 v[4:5], v[20:21], -v[4:5]
	v_add_f64 v[6:7], v[22:23], -v[6:7]
	;; [unrolled: 1-line block ×4, first 2 shown]
	v_fma_f64 v[16:17], v[16:17], 2.0, -v[0:1]
	v_fma_f64 v[18:19], v[18:19], 2.0, -v[2:3]
	;; [unrolled: 1-line block ×6, first 2 shown]
	ds_write_b128 v93, v[16:19]
	ds_write_b128 v93, v[0:3] offset:1056
	ds_write_b128 v93, v[20:23] offset:352
	;; [unrolled: 1-line block ×5, first 2 shown]
	s_waitcnt lgkmcnt(0)
	s_barrier
	s_and_b64 exec, exec, vcc
	s_cbranch_execz .LBB0_15
; %bb.14:
	global_load_dwordx4 v[0:3], v187, s[14:15]
	global_load_dwordx4 v[4:7], v187, s[14:15] offset:192
	global_load_dwordx4 v[8:11], v187, s[14:15] offset:384
	;; [unrolled: 1-line block ×10, first 2 shown]
	v_mad_u64_u32 v[68:69], s[0:1], s6, v80, 0
	v_mad_u64_u32 v[70:71], s[2:3], s4, v185, 0
	;; [unrolled: 1-line block ×3, first 2 shown]
	s_mul_i32 s3, s5, 0xc0
	s_mul_hi_u32 s6, s4, 0xc0
	s_add_i32 s3, s6, s3
	v_mad_u64_u32 v[74:75], s[6:7], s7, v80, v[69:70]
	v_mad_u64_u32 v[75:76], s[6:7], s5, v185, v[71:72]
	v_mov_b32_e32 v69, v74
	v_lshlrev_b64 v[68:69], 4, v[68:69]
	v_mov_b32_e32 v71, v75
	v_mov_b32_e32 v78, s13
	v_lshlrev_b64 v[70:71], 4, v[70:71]
	v_add_co_u32_e32 v89, vcc, s12, v68
	v_addc_co_u32_e32 v90, vcc, v78, v69, vcc
	v_lshl_add_u32 v88, v188, 4, v187
	ds_read_b128 v[44:47], v93
	ds_read_b128 v[48:51], v88 offset:192
	v_add_co_u32_e32 v68, vcc, v89, v70
	s_mul_i32 s2, s4, 0xc0
	v_addc_co_u32_e32 v69, vcc, v90, v71, vcc
	v_mov_b32_e32 v79, s3
	v_add_co_u32_e32 v70, vcc, s2, v68
	v_addc_co_u32_e32 v71, vcc, v69, v79, vcc
	ds_read_b128 v[52:55], v88 offset:384
	ds_read_b128 v[56:59], v88 offset:576
	;; [unrolled: 1-line block ×4, first 2 shown]
	v_mov_b32_e32 v81, s3
	v_mad_u64_u32 v[76:77], s[6:7], s5, v186, v[73:74]
	v_add_co_u32_e32 v74, vcc, s2, v70
	v_addc_co_u32_e32 v75, vcc, v71, v81, vcc
	s_mov_b32 s0, 0xf07c1f08
	s_mov_b32 s1, 0x3f7f07c1
	v_mov_b32_e32 v77, s3
	v_mov_b32_e32 v73, v76
	v_add_co_u32_e32 v76, vcc, s2, v74
	v_addc_co_u32_e32 v77, vcc, v75, v77, vcc
	s_mul_i32 s8, s5, 0x180
	s_waitcnt vmcnt(10) lgkmcnt(5)
	v_mul_f64 v[78:79], v[46:47], v[2:3]
	v_mul_f64 v[2:3], v[44:45], v[2:3]
	s_waitcnt vmcnt(9) lgkmcnt(4)
	v_mul_f64 v[80:81], v[50:51], v[6:7]
	v_mul_f64 v[6:7], v[48:49], v[6:7]
	;; [unrolled: 3-line block ×4, first 2 shown]
	v_fma_f64 v[44:45], v[44:45], v[0:1], v[78:79]
	v_fma_f64 v[2:3], v[0:1], v[46:47], -v[2:3]
	v_fma_f64 v[46:47], v[48:49], v[4:5], v[80:81]
	v_fma_f64 v[6:7], v[4:5], v[50:51], -v[6:7]
	;; [unrolled: 2-line block ×4, first 2 shown]
	v_mul_f64 v[0:1], v[44:45], s[0:1]
	v_mul_f64 v[2:3], v[2:3], s[0:1]
	;; [unrolled: 1-line block ×8, first 2 shown]
	s_waitcnt vmcnt(5) lgkmcnt(0)
	v_mul_f64 v[44:45], v[66:67], v[22:23]
	v_mul_f64 v[22:23], v[64:65], v[22:23]
	global_store_dwordx4 v[68:69], v[0:3], off
	global_store_dwordx4 v[70:71], v[4:7], off
	;; [unrolled: 1-line block ×4, first 2 shown]
	ds_read_b128 v[0:3], v88 offset:1152
	ds_read_b128 v[4:7], v88 offset:1344
	v_mul_f64 v[86:87], v[62:63], v[18:19]
	v_mul_f64 v[18:19], v[60:61], v[18:19]
	v_fma_f64 v[10:11], v[64:65], v[20:21], v[44:45]
	v_fma_f64 v[12:13], v[20:21], v[66:67], -v[22:23]
	s_waitcnt vmcnt(8) lgkmcnt(1)
	v_mul_f64 v[14:15], v[2:3], v[26:27]
	v_mul_f64 v[20:21], v[0:1], v[26:27]
	v_lshlrev_b64 v[8:9], 4, v[72:73]
	v_mov_b32_e32 v26, 0x180
	v_fma_f64 v[52:53], v[60:61], v[16:17], v[86:87]
	v_fma_f64 v[18:19], v[16:17], v[62:63], -v[18:19]
	v_add_co_u32_e32 v22, vcc, v89, v8
	v_fma_f64 v[0:1], v[0:1], v[24:25], v[14:15]
	v_fma_f64 v[2:3], v[24:25], v[2:3], -v[20:21]
	s_waitcnt vmcnt(7) lgkmcnt(0)
	v_mul_f64 v[14:15], v[6:7], v[30:31]
	v_mul_f64 v[20:21], v[4:5], v[30:31]
	;; [unrolled: 1-line block ×4, first 2 shown]
	v_addc_co_u32_e32 v23, vcc, v90, v9, vcc
	v_mul_f64 v[8:9], v[10:11], s[0:1]
	v_mul_f64 v[10:11], v[12:13], s[0:1]
	;; [unrolled: 1-line block ×4, first 2 shown]
	v_fma_f64 v[4:5], v[4:5], v[28:29], v[14:15]
	v_fma_f64 v[6:7], v[28:29], v[6:7], -v[20:21]
	v_mad_u64_u32 v[12:13], s[6:7], s4, v26, v[76:77]
	global_store_dwordx4 v[22:23], v[16:19], off
	v_or_b32_e32 v24, 0x60, v185
	v_add_u32_e32 v13, s8, v13
	global_store_dwordx4 v[12:13], v[8:11], off
	v_mad_u64_u32 v[18:19], s[6:7], s4, v24, 0
	v_mov_b32_e32 v9, s3
	v_add_co_u32_e32 v8, vcc, s2, v12
	v_addc_co_u32_e32 v9, vcc, v13, v9, vcc
	global_store_dwordx4 v[8:9], v[0:3], off
	v_mov_b32_e32 v10, s3
	v_mul_f64 v[0:1], v[4:5], s[0:1]
	v_mul_f64 v[2:3], v[6:7], s[0:1]
	ds_read_b128 v[4:7], v88 offset:1536
	v_add_co_u32_e32 v12, vcc, s2, v8
	v_addc_co_u32_e32 v13, vcc, v9, v10, vcc
	ds_read_b128 v[8:11], v88 offset:1728
	s_waitcnt vmcnt(9) lgkmcnt(1)
	v_mul_f64 v[14:15], v[6:7], v[34:35]
	v_mul_f64 v[16:17], v[4:5], v[34:35]
	global_store_dwordx4 v[12:13], v[0:3], off
	ds_read_b128 v[0:3], v88 offset:1920
	s_waitcnt vmcnt(9) lgkmcnt(1)
	v_mul_f64 v[20:21], v[10:11], v[38:39]
	v_mul_f64 v[22:23], v[8:9], v[38:39]
	v_fma_f64 v[4:5], v[4:5], v[32:33], v[14:15]
	v_mov_b32_e32 v14, v19
	v_mad_u64_u32 v[14:15], s[6:7], s5, v24, v[14:15]
	v_fma_f64 v[6:7], v[32:33], v[6:7], -v[16:17]
	v_fma_f64 v[8:9], v[8:9], v[36:37], v[20:21]
	s_waitcnt vmcnt(8) lgkmcnt(0)
	v_mul_f64 v[15:16], v[2:3], v[42:43]
	v_mul_f64 v[20:21], v[0:1], v[42:43]
	v_fma_f64 v[10:11], v[36:37], v[10:11], -v[22:23]
	v_mul_f64 v[4:5], v[4:5], s[0:1]
	v_mov_b32_e32 v19, v14
	v_lshlrev_b64 v[17:18], 4, v[18:19]
	v_mul_f64 v[6:7], v[6:7], s[0:1]
	v_mul_f64 v[8:9], v[8:9], s[0:1]
	v_fma_f64 v[0:1], v[0:1], v[40:41], v[15:16]
	v_fma_f64 v[2:3], v[40:41], v[2:3], -v[20:21]
	v_mul_f64 v[10:11], v[10:11], s[0:1]
	v_mad_u64_u32 v[12:13], s[4:5], s4, v26, v[12:13]
	v_add_co_u32_e32 v14, vcc, v89, v17
	v_addc_co_u32_e32 v15, vcc, v90, v18, vcc
	v_mul_f64 v[0:1], v[0:1], s[0:1]
	v_mul_f64 v[2:3], v[2:3], s[0:1]
	global_store_dwordx4 v[14:15], v[4:7], off
	v_add_u32_e32 v13, s8, v13
	v_mov_b32_e32 v5, s3
	v_add_co_u32_e32 v4, vcc, s2, v12
	v_addc_co_u32_e32 v5, vcc, v13, v5, vcc
	global_store_dwordx4 v[12:13], v[8:11], off
	global_store_dwordx4 v[4:5], v[0:3], off
.LBB0_15:
	s_endpgm
	.section	.rodata,"a",@progbits
	.p2align	6, 0x0
	.amdhsa_kernel bluestein_single_back_len132_dim1_dp_op_CI_CI
		.amdhsa_group_segment_fixed_size 10560
		.amdhsa_private_segment_fixed_size 0
		.amdhsa_kernarg_size 104
		.amdhsa_user_sgpr_count 6
		.amdhsa_user_sgpr_private_segment_buffer 1
		.amdhsa_user_sgpr_dispatch_ptr 0
		.amdhsa_user_sgpr_queue_ptr 0
		.amdhsa_user_sgpr_kernarg_segment_ptr 1
		.amdhsa_user_sgpr_dispatch_id 0
		.amdhsa_user_sgpr_flat_scratch_init 0
		.amdhsa_user_sgpr_private_segment_size 0
		.amdhsa_uses_dynamic_stack 0
		.amdhsa_system_sgpr_private_segment_wavefront_offset 0
		.amdhsa_system_sgpr_workgroup_id_x 1
		.amdhsa_system_sgpr_workgroup_id_y 0
		.amdhsa_system_sgpr_workgroup_id_z 0
		.amdhsa_system_sgpr_workgroup_info 0
		.amdhsa_system_vgpr_workitem_id 0
		.amdhsa_next_free_vgpr 249
		.amdhsa_next_free_sgpr 38
		.amdhsa_reserve_vcc 1
		.amdhsa_reserve_flat_scratch 0
		.amdhsa_float_round_mode_32 0
		.amdhsa_float_round_mode_16_64 0
		.amdhsa_float_denorm_mode_32 3
		.amdhsa_float_denorm_mode_16_64 3
		.amdhsa_dx10_clamp 1
		.amdhsa_ieee_mode 1
		.amdhsa_fp16_overflow 0
		.amdhsa_exception_fp_ieee_invalid_op 0
		.amdhsa_exception_fp_denorm_src 0
		.amdhsa_exception_fp_ieee_div_zero 0
		.amdhsa_exception_fp_ieee_overflow 0
		.amdhsa_exception_fp_ieee_underflow 0
		.amdhsa_exception_fp_ieee_inexact 0
		.amdhsa_exception_int_div_zero 0
	.end_amdhsa_kernel
	.text
.Lfunc_end0:
	.size	bluestein_single_back_len132_dim1_dp_op_CI_CI, .Lfunc_end0-bluestein_single_back_len132_dim1_dp_op_CI_CI
                                        ; -- End function
	.section	.AMDGPU.csdata,"",@progbits
; Kernel info:
; codeLenInByte = 11212
; NumSgprs: 42
; NumVgprs: 249
; ScratchSize: 0
; MemoryBound: 0
; FloatMode: 240
; IeeeMode: 1
; LDSByteSize: 10560 bytes/workgroup (compile time only)
; SGPRBlocks: 5
; VGPRBlocks: 62
; NumSGPRsForWavesPerEU: 42
; NumVGPRsForWavesPerEU: 249
; Occupancy: 1
; WaveLimiterHint : 1
; COMPUTE_PGM_RSRC2:SCRATCH_EN: 0
; COMPUTE_PGM_RSRC2:USER_SGPR: 6
; COMPUTE_PGM_RSRC2:TRAP_HANDLER: 0
; COMPUTE_PGM_RSRC2:TGID_X_EN: 1
; COMPUTE_PGM_RSRC2:TGID_Y_EN: 0
; COMPUTE_PGM_RSRC2:TGID_Z_EN: 0
; COMPUTE_PGM_RSRC2:TIDIG_COMP_CNT: 0
	.type	__hip_cuid_e3d6b64cee624372,@object ; @__hip_cuid_e3d6b64cee624372
	.section	.bss,"aw",@nobits
	.globl	__hip_cuid_e3d6b64cee624372
__hip_cuid_e3d6b64cee624372:
	.byte	0                               ; 0x0
	.size	__hip_cuid_e3d6b64cee624372, 1

	.ident	"AMD clang version 19.0.0git (https://github.com/RadeonOpenCompute/llvm-project roc-6.4.0 25133 c7fe45cf4b819c5991fe208aaa96edf142730f1d)"
	.section	".note.GNU-stack","",@progbits
	.addrsig
	.addrsig_sym __hip_cuid_e3d6b64cee624372
	.amdgpu_metadata
---
amdhsa.kernels:
  - .args:
      - .actual_access:  read_only
        .address_space:  global
        .offset:         0
        .size:           8
        .value_kind:     global_buffer
      - .actual_access:  read_only
        .address_space:  global
        .offset:         8
        .size:           8
        .value_kind:     global_buffer
      - .actual_access:  read_only
        .address_space:  global
        .offset:         16
        .size:           8
        .value_kind:     global_buffer
      - .actual_access:  read_only
        .address_space:  global
        .offset:         24
        .size:           8
        .value_kind:     global_buffer
      - .actual_access:  read_only
        .address_space:  global
        .offset:         32
        .size:           8
        .value_kind:     global_buffer
      - .offset:         40
        .size:           8
        .value_kind:     by_value
      - .address_space:  global
        .offset:         48
        .size:           8
        .value_kind:     global_buffer
      - .address_space:  global
        .offset:         56
        .size:           8
        .value_kind:     global_buffer
      - .address_space:  global
        .offset:         64
        .size:           8
        .value_kind:     global_buffer
      - .address_space:  global
        .offset:         72
        .size:           8
        .value_kind:     global_buffer
      - .offset:         80
        .size:           4
        .value_kind:     by_value
      - .address_space:  global
        .offset:         88
        .size:           8
        .value_kind:     global_buffer
      - .address_space:  global
        .offset:         96
        .size:           8
        .value_kind:     global_buffer
    .group_segment_fixed_size: 10560
    .kernarg_segment_align: 8
    .kernarg_segment_size: 104
    .language:       OpenCL C
    .language_version:
      - 2
      - 0
    .max_flat_workgroup_size: 110
    .name:           bluestein_single_back_len132_dim1_dp_op_CI_CI
    .private_segment_fixed_size: 0
    .sgpr_count:     42
    .sgpr_spill_count: 0
    .symbol:         bluestein_single_back_len132_dim1_dp_op_CI_CI.kd
    .uniform_work_group_size: 1
    .uses_dynamic_stack: false
    .vgpr_count:     249
    .vgpr_spill_count: 0
    .wavefront_size: 64
amdhsa.target:   amdgcn-amd-amdhsa--gfx906
amdhsa.version:
  - 1
  - 2
...

	.end_amdgpu_metadata
